;; amdgpu-corpus repo=ggml-org/llama.cpp kind=compiled arch=gfx90a opt=O3
	.text
	.amdgcn_target "amdgcn-amd-amdhsa--gfx90a"
	.amdhsa_code_object_version 6
	.section	.text._ZL25pad_reflect_1d_kernel_f32PKvPvll15HIP_vector_typeIjLj3EEllllllllllii,"axG",@progbits,_ZL25pad_reflect_1d_kernel_f32PKvPvll15HIP_vector_typeIjLj3EEllllllllllii,comdat
	.globl	_ZL25pad_reflect_1d_kernel_f32PKvPvll15HIP_vector_typeIjLj3EEllllllllllii ; -- Begin function _ZL25pad_reflect_1d_kernel_f32PKvPvll15HIP_vector_typeIjLj3EEllllllllllii
	.p2align	8
	.type	_ZL25pad_reflect_1d_kernel_f32PKvPvll15HIP_vector_typeIjLj3EEllllllllllii,@function
_ZL25pad_reflect_1d_kernel_f32PKvPvll15HIP_vector_typeIjLj3EEllllllllllii: ; @_ZL25pad_reflect_1d_kernel_f32PKvPvll15HIP_vector_typeIjLj3EEllllllllllii
; %bb.0:
	s_load_dwordx16 s[12:27], s[4:5], 0x30
	s_load_dwordx8 s[36:43], s[4:5], 0x10
	s_load_dword s1, s[4:5], 0x94
	s_mov_b32 s9, 0
	v_mov_b32_e32 v1, 0
	s_mov_b32 s10, s7
	s_waitcnt lgkmcnt(0)
	s_mul_hi_u32 s0, s40, s6
	s_add_i32 s0, s6, s0
	s_lshr_b32 s0, s0, s41
	s_and_b32 s1, s1, 0xffff
	s_mul_i32 s2, s0, s42
	v_mov_b32_e32 v6, s1
	v_mov_b32_e32 v2, s12
	;; [unrolled: 1-line block ×3, first 2 shown]
	s_mov_b32 s11, s9
	s_sub_i32 s12, s6, s2
	v_mad_u64_u32 v[0:1], s[0:1], s0, v6, v[0:1]
	v_cmp_gt_i64_e32 vcc, s[36:37], v[0:1]
	s_cmp_lt_u32 s12, s42
	v_cmp_lt_i64_e64 s[0:1], s[10:11], v[2:3]
	v_mov_b32_e32 v4, s14
	v_mov_b32_e32 v5, s15
	s_cselect_b64 s[2:3], -1, 0
	s_and_b64 s[0:1], vcc, s[0:1]
	s_and_b64 s[0:1], s[0:1], s[2:3]
	v_cmp_lt_i64_e32 vcc, s[8:9], v[4:5]
	s_and_b64 s[0:1], vcc, s[0:1]
	s_and_saveexec_b64 s[2:3], s[0:1]
	s_cbranch_execz .LBB0_4
; %bb.1:
	s_load_dword s6, s[4:5], 0x80
	s_load_dwordx4 s[0:3], s[4:5], 0x0
	s_waitcnt lgkmcnt(0)
	s_ashr_i32 s7, s6, 31
	v_mov_b32_e32 v2, s7
	v_subrev_co_u32_e32 v4, vcc, s6, v0
	v_subb_co_u32_e32 v5, vcc, v1, v2, vcc
	v_sub_co_u32_e32 v2, vcc, 0, v4
	v_subb_co_u32_e32 v3, vcc, 0, v5, vcc
	v_cmp_lt_i64_e32 vcc, -1, v[4:5]
	s_and_saveexec_b64 s[6:7], vcc
; %bb.2:
	s_lshl_b64 s[14:15], s[38:39], 1
	v_mov_b32_e32 v2, s15
	v_sub_co_u32_e32 v3, vcc, s14, v4
	v_subb_co_u32_e32 v2, vcc, v2, v5, vcc
	v_add_co_u32_e32 v6, vcc, -2, v3
	v_addc_co_u32_e32 v2, vcc, -1, v2, vcc
	v_cmp_gt_i64_e32 vcc, s[38:39], v[4:5]
	v_cndmask_b32_e32 v3, v2, v5, vcc
	v_cndmask_b32_e32 v2, v6, v4, vcc
; %bb.3:
	s_or_b64 exec, exec, s[6:7]
	s_mul_i32 s6, s8, s23
	s_mul_hi_u32 s7, s8, s22
	s_add_i32 s7, s7, s6
	s_mul_i32 s6, s8, s22
	s_add_u32 s0, s0, s6
	s_addc_u32 s1, s1, s7
	s_mul_i32 s6, s10, s21
	s_mul_hi_u32 s7, s10, s20
	s_add_i32 s7, s7, s6
	s_mul_i32 s6, s10, s20
	s_add_u32 s0, s0, s6
	s_addc_u32 s1, s1, s7
	;; [unrolled: 6-line block ×3, first 2 shown]
	v_pk_mov_b32 v[4:5], s[0:1], s[0:1] op_sel:[0,1]
	v_mad_u64_u32 v[4:5], s[0:1], v2, s16, v[4:5]
	v_mul_lo_u32 v2, v2, s17
	v_mul_lo_u32 v3, v3, s16
	v_add3_u32 v5, v3, v5, v2
	global_load_dword v4, v[4:5], off
	s_load_dwordx4 s[4:7], s[4:5], 0x70
	v_mul_lo_u32 v1, v1, s24
	s_waitcnt lgkmcnt(0)
	s_mul_i32 s0, s8, s7
	s_mul_hi_u32 s1, s8, s6
	s_add_i32 s1, s1, s0
	s_mul_i32 s0, s8, s6
	s_add_u32 s0, s2, s0
	s_addc_u32 s1, s3, s1
	s_mul_i32 s2, s10, s5
	s_mul_hi_u32 s3, s10, s4
	s_add_i32 s3, s3, s2
	s_mul_i32 s2, s10, s4
	s_add_u32 s0, s0, s2
	s_addc_u32 s1, s1, s3
	s_mul_i32 s2, s12, s27
	s_mul_hi_u32 s3, s12, s26
	s_add_i32 s3, s3, s2
	s_mul_i32 s12, s12, s26
	s_add_u32 s0, s0, s12
	s_addc_u32 s1, s1, s3
	v_pk_mov_b32 v[2:3], s[0:1], s[0:1] op_sel:[0,1]
	v_mad_u64_u32 v[2:3], s[0:1], v0, s24, v[2:3]
	v_mul_lo_u32 v0, v0, s25
	v_add3_u32 v3, v1, v3, v0
	s_waitcnt vmcnt(0)
	global_store_dword v[2:3], v4, off
.LBB0_4:
	s_endpgm
	.section	.rodata,"a",@progbits
	.p2align	6, 0x0
	.amdhsa_kernel _ZL25pad_reflect_1d_kernel_f32PKvPvll15HIP_vector_typeIjLj3EEllllllllllii
		.amdhsa_group_segment_fixed_size 0
		.amdhsa_private_segment_fixed_size 0
		.amdhsa_kernarg_size 392
		.amdhsa_user_sgpr_count 6
		.amdhsa_user_sgpr_private_segment_buffer 1
		.amdhsa_user_sgpr_dispatch_ptr 0
		.amdhsa_user_sgpr_queue_ptr 0
		.amdhsa_user_sgpr_kernarg_segment_ptr 1
		.amdhsa_user_sgpr_dispatch_id 0
		.amdhsa_user_sgpr_flat_scratch_init 0
		.amdhsa_user_sgpr_kernarg_preload_length 0
		.amdhsa_user_sgpr_kernarg_preload_offset 0
		.amdhsa_user_sgpr_private_segment_size 0
		.amdhsa_uses_dynamic_stack 0
		.amdhsa_system_sgpr_private_segment_wavefront_offset 0
		.amdhsa_system_sgpr_workgroup_id_x 1
		.amdhsa_system_sgpr_workgroup_id_y 1
		.amdhsa_system_sgpr_workgroup_id_z 1
		.amdhsa_system_sgpr_workgroup_info 0
		.amdhsa_system_vgpr_workitem_id 0
		.amdhsa_next_free_vgpr 7
		.amdhsa_next_free_sgpr 44
		.amdhsa_accum_offset 8
		.amdhsa_reserve_vcc 1
		.amdhsa_reserve_flat_scratch 0
		.amdhsa_float_round_mode_32 0
		.amdhsa_float_round_mode_16_64 0
		.amdhsa_float_denorm_mode_32 3
		.amdhsa_float_denorm_mode_16_64 3
		.amdhsa_dx10_clamp 1
		.amdhsa_ieee_mode 1
		.amdhsa_fp16_overflow 0
		.amdhsa_tg_split 0
		.amdhsa_exception_fp_ieee_invalid_op 0
		.amdhsa_exception_fp_denorm_src 0
		.amdhsa_exception_fp_ieee_div_zero 0
		.amdhsa_exception_fp_ieee_overflow 0
		.amdhsa_exception_fp_ieee_underflow 0
		.amdhsa_exception_fp_ieee_inexact 0
		.amdhsa_exception_int_div_zero 0
	.end_amdhsa_kernel
	.section	.text._ZL25pad_reflect_1d_kernel_f32PKvPvll15HIP_vector_typeIjLj3EEllllllllllii,"axG",@progbits,_ZL25pad_reflect_1d_kernel_f32PKvPvll15HIP_vector_typeIjLj3EEllllllllllii,comdat
.Lfunc_end0:
	.size	_ZL25pad_reflect_1d_kernel_f32PKvPvll15HIP_vector_typeIjLj3EEllllllllllii, .Lfunc_end0-_ZL25pad_reflect_1d_kernel_f32PKvPvll15HIP_vector_typeIjLj3EEllllllllllii
                                        ; -- End function
	.section	.AMDGPU.csdata,"",@progbits
; Kernel info:
; codeLenInByte = 496
; NumSgprs: 48
; NumVgprs: 7
; NumAgprs: 0
; TotalNumVgprs: 7
; ScratchSize: 0
; MemoryBound: 0
; FloatMode: 240
; IeeeMode: 1
; LDSByteSize: 0 bytes/workgroup (compile time only)
; SGPRBlocks: 5
; VGPRBlocks: 0
; NumSGPRsForWavesPerEU: 48
; NumVGPRsForWavesPerEU: 7
; AccumOffset: 8
; Occupancy: 8
; WaveLimiterHint : 0
; COMPUTE_PGM_RSRC2:SCRATCH_EN: 0
; COMPUTE_PGM_RSRC2:USER_SGPR: 6
; COMPUTE_PGM_RSRC2:TRAP_HANDLER: 0
; COMPUTE_PGM_RSRC2:TGID_X_EN: 1
; COMPUTE_PGM_RSRC2:TGID_Y_EN: 1
; COMPUTE_PGM_RSRC2:TGID_Z_EN: 1
; COMPUTE_PGM_RSRC2:TIDIG_COMP_CNT: 0
; COMPUTE_PGM_RSRC3_GFX90A:ACCUM_OFFSET: 1
; COMPUTE_PGM_RSRC3_GFX90A:TG_SPLIT: 0
	.text
	.p2alignl 6, 3212836864
	.fill 256, 4, 3212836864
	.type	__hip_cuid_f63b8b5936bdd062,@object ; @__hip_cuid_f63b8b5936bdd062
	.section	.bss,"aw",@nobits
	.globl	__hip_cuid_f63b8b5936bdd062
__hip_cuid_f63b8b5936bdd062:
	.byte	0                               ; 0x0
	.size	__hip_cuid_f63b8b5936bdd062, 1

	.ident	"AMD clang version 19.0.0git (https://github.com/RadeonOpenCompute/llvm-project roc-6.4.0 25133 c7fe45cf4b819c5991fe208aaa96edf142730f1d)"
	.section	".note.GNU-stack","",@progbits
	.addrsig
	.addrsig_sym __hip_cuid_f63b8b5936bdd062
	.amdgpu_metadata
---
amdhsa.kernels:
  - .agpr_count:     0
    .args:
      - .actual_access:  read_only
        .address_space:  global
        .offset:         0
        .size:           8
        .value_kind:     global_buffer
      - .actual_access:  write_only
        .address_space:  global
        .offset:         8
        .size:           8
        .value_kind:     global_buffer
      - .offset:         16
        .size:           8
        .value_kind:     by_value
      - .offset:         24
        .size:           8
        .value_kind:     by_value
      - .offset:         32
        .size:           12
        .value_kind:     by_value
      - .offset:         48
        .size:           8
        .value_kind:     by_value
      - .offset:         56
        .size:           8
        .value_kind:     by_value
      - .offset:         64
        .size:           8
        .value_kind:     by_value
      - .offset:         72
        .size:           8
        .value_kind:     by_value
      - .offset:         80
        .size:           8
        .value_kind:     by_value
      - .offset:         88
        .size:           8
        .value_kind:     by_value
      - .offset:         96
        .size:           8
        .value_kind:     by_value
      - .offset:         104
        .size:           8
        .value_kind:     by_value
      - .offset:         112
        .size:           8
        .value_kind:     by_value
      - .offset:         120
        .size:           8
        .value_kind:     by_value
      - .offset:         128
        .size:           4
        .value_kind:     by_value
      - .offset:         132
        .size:           4
        .value_kind:     by_value
      - .offset:         136
        .size:           4
        .value_kind:     hidden_block_count_x
      - .offset:         140
        .size:           4
        .value_kind:     hidden_block_count_y
      - .offset:         144
        .size:           4
        .value_kind:     hidden_block_count_z
      - .offset:         148
        .size:           2
        .value_kind:     hidden_group_size_x
      - .offset:         150
        .size:           2
        .value_kind:     hidden_group_size_y
      - .offset:         152
        .size:           2
        .value_kind:     hidden_group_size_z
      - .offset:         154
        .size:           2
        .value_kind:     hidden_remainder_x
      - .offset:         156
        .size:           2
        .value_kind:     hidden_remainder_y
      - .offset:         158
        .size:           2
        .value_kind:     hidden_remainder_z
      - .offset:         176
        .size:           8
        .value_kind:     hidden_global_offset_x
      - .offset:         184
        .size:           8
        .value_kind:     hidden_global_offset_y
      - .offset:         192
        .size:           8
        .value_kind:     hidden_global_offset_z
      - .offset:         200
        .size:           2
        .value_kind:     hidden_grid_dims
    .group_segment_fixed_size: 0
    .kernarg_segment_align: 8
    .kernarg_segment_size: 392
    .language:       OpenCL C
    .language_version:
      - 2
      - 0
    .max_flat_workgroup_size: 256
    .name:           _ZL25pad_reflect_1d_kernel_f32PKvPvll15HIP_vector_typeIjLj3EEllllllllllii
    .private_segment_fixed_size: 0
    .sgpr_count:     48
    .sgpr_spill_count: 0
    .symbol:         _ZL25pad_reflect_1d_kernel_f32PKvPvll15HIP_vector_typeIjLj3EEllllllllllii.kd
    .uniform_work_group_size: 1
    .uses_dynamic_stack: false
    .vgpr_count:     7
    .vgpr_spill_count: 0
    .wavefront_size: 64
amdhsa.target:   amdgcn-amd-amdhsa--gfx90a
amdhsa.version:
  - 1
  - 2
...

	.end_amdgpu_metadata
